;; amdgpu-corpus repo=zjin-lcf/HeCBench kind=compiled arch=gfx906 opt=O3
	.amdgcn_target "amdgcn-amd-amdhsa--gfx906"
	.amdhsa_code_object_version 6
	.text
	.protected	_Z15iso_2dfd_kernelPfPKfS1_fmm ; -- Begin function _Z15iso_2dfd_kernelPfPKfS1_fmm
	.globl	_Z15iso_2dfd_kernelPfPKfS1_fmm
	.p2align	8
	.type	_Z15iso_2dfd_kernelPfPKfS1_fmm,@function
_Z15iso_2dfd_kernelPfPKfS1_fmm:         ; @_Z15iso_2dfd_kernelPfPKfS1_fmm
; %bb.0:
	s_load_dword s0, s[4:5], 0x3c
	s_load_dwordx4 s[8:11], s[4:5], 0x20
	v_mov_b32_e32 v3, 0
	s_waitcnt lgkmcnt(0)
	s_lshr_b32 s1, s0, 16
	s_and_b32 s0, s0, 0xffff
	s_mul_i32 s6, s6, s0
	s_mul_i32 s7, s7, s1
	v_add_u32_e32 v2, s6, v0
	v_add_u32_e32 v0, s7, v1
	v_mov_b32_e32 v1, v3
	v_cmp_gt_u64_e32 vcc, s[8:9], v[0:1]
	v_cmp_gt_u64_e64 s[0:1], s[10:11], v[2:3]
	s_and_b64 s[0:1], s[0:1], vcc
	s_and_saveexec_b64 s[2:3], s[0:1]
	s_cbranch_execz .LBB0_4
; %bb.1:
	v_cmp_ne_u32_e32 vcc, 0, v2
	s_and_b64 exec, exec, vcc
	s_cbranch_execz .LBB0_4
; %bb.2:
	s_add_u32 s0, s10, -1
	s_addc_u32 s1, s11, -1
	v_cmp_gt_u64_e32 vcc, s[0:1], v[2:3]
	s_add_u32 s0, s8, -1
	s_addc_u32 s1, s9, -1
	v_cmp_gt_u64_e64 s[0:1], s[0:1], v[0:1]
	v_cmp_ne_u32_e64 s[2:3], 0, v0
	s_and_b64 s[0:1], vcc, s[0:1]
	s_and_b64 s[0:1], s[0:1], s[2:3]
	s_and_b64 exec, exec, s[0:1]
	s_cbranch_execz .LBB0_4
; %bb.3:
	v_mad_u64_u32 v[1:2], s[0:1], s10, v0, v[2:3]
	s_load_dwordx4 s[0:3], s[4:5], 0x0
	s_lshl_b64 s[8:9], s[10:11], 2
	v_mad_u64_u32 v[3:4], s[6:7], s11, v0, v[2:3]
	s_load_dwordx2 s[6:7], s[4:5], 0x10
	s_waitcnt lgkmcnt(0)
	v_mov_b32_e32 v0, s3
	v_mov_b32_e32 v2, v3
	v_lshlrev_b64 v[4:5], 2, v[1:2]
	v_mov_b32_e32 v2, s11
	v_add_co_u32_e32 v6, vcc, s2, v4
	v_addc_co_u32_e32 v7, vcc, v0, v5, vcc
	v_mov_b32_e32 v0, s9
	v_add_co_u32_e32 v8, vcc, s8, v6
	v_addc_co_u32_e32 v9, vcc, v7, v0, vcc
	v_subrev_co_u32_e32 v0, vcc, s10, v1
	v_subb_co_u32_e32 v1, vcc, v3, v2, vcc
	v_lshlrev_b64 v[0:1], 2, v[0:1]
	v_mov_b32_e32 v2, s3
	v_add_co_u32_e32 v10, vcc, s2, v0
	v_addc_co_u32_e32 v11, vcc, v2, v1, vcc
	global_load_dwordx3 v[0:2], v[6:7], off offset:-4
	global_load_dword v12, v[8:9], off
	global_load_dword v13, v[10:11], off
	v_mov_b32_e32 v3, s7
	v_add_co_u32_e32 v6, vcc, s6, v4
	v_addc_co_u32_e32 v7, vcc, v3, v5, vcc
	global_load_dword v6, v[6:7], off
	v_mov_b32_e32 v7, s1
	v_add_co_u32_e32 v3, vcc, s0, v4
	v_addc_co_u32_e32 v4, vcc, v7, v5, vcc
	global_load_dword v5, v[3:4], off
	s_load_dword s0, s[4:5], 0x18
	s_waitcnt vmcnt(4)
	v_fma_f32 v2, -2.0, v1, v2
	v_add_f32_e32 v0, v0, v2
	s_waitcnt vmcnt(3)
	v_fmac_f32_e32 v12, -2.0, v1
	v_add_f32_e32 v0, 0, v0
	s_waitcnt vmcnt(2)
	v_add_f32_e32 v2, v12, v13
	v_add_f32_e32 v0, v0, v2
	s_waitcnt vmcnt(1) lgkmcnt(0)
	v_mul_f32_e32 v6, s0, v6
	s_waitcnt vmcnt(0)
	v_fma_f32 v1, v1, 2.0, -v5
	v_fmac_f32_e32 v1, v0, v6
	global_store_dword v[3:4], v1, off
.LBB0_4:
	s_endpgm
	.section	.rodata,"a",@progbits
	.p2align	6, 0x0
	.amdhsa_kernel _Z15iso_2dfd_kernelPfPKfS1_fmm
		.amdhsa_group_segment_fixed_size 0
		.amdhsa_private_segment_fixed_size 0
		.amdhsa_kernarg_size 304
		.amdhsa_user_sgpr_count 6
		.amdhsa_user_sgpr_private_segment_buffer 1
		.amdhsa_user_sgpr_dispatch_ptr 0
		.amdhsa_user_sgpr_queue_ptr 0
		.amdhsa_user_sgpr_kernarg_segment_ptr 1
		.amdhsa_user_sgpr_dispatch_id 0
		.amdhsa_user_sgpr_flat_scratch_init 0
		.amdhsa_user_sgpr_private_segment_size 0
		.amdhsa_uses_dynamic_stack 0
		.amdhsa_system_sgpr_private_segment_wavefront_offset 0
		.amdhsa_system_sgpr_workgroup_id_x 1
		.amdhsa_system_sgpr_workgroup_id_y 1
		.amdhsa_system_sgpr_workgroup_id_z 0
		.amdhsa_system_sgpr_workgroup_info 0
		.amdhsa_system_vgpr_workitem_id 1
		.amdhsa_next_free_vgpr 14
		.amdhsa_next_free_sgpr 12
		.amdhsa_reserve_vcc 1
		.amdhsa_reserve_flat_scratch 0
		.amdhsa_float_round_mode_32 0
		.amdhsa_float_round_mode_16_64 0
		.amdhsa_float_denorm_mode_32 3
		.amdhsa_float_denorm_mode_16_64 3
		.amdhsa_dx10_clamp 1
		.amdhsa_ieee_mode 1
		.amdhsa_fp16_overflow 0
		.amdhsa_exception_fp_ieee_invalid_op 0
		.amdhsa_exception_fp_denorm_src 0
		.amdhsa_exception_fp_ieee_div_zero 0
		.amdhsa_exception_fp_ieee_overflow 0
		.amdhsa_exception_fp_ieee_underflow 0
		.amdhsa_exception_fp_ieee_inexact 0
		.amdhsa_exception_int_div_zero 0
	.end_amdhsa_kernel
	.text
.Lfunc_end0:
	.size	_Z15iso_2dfd_kernelPfPKfS1_fmm, .Lfunc_end0-_Z15iso_2dfd_kernelPfPKfS1_fmm
                                        ; -- End function
	.set _Z15iso_2dfd_kernelPfPKfS1_fmm.num_vgpr, 14
	.set _Z15iso_2dfd_kernelPfPKfS1_fmm.num_agpr, 0
	.set _Z15iso_2dfd_kernelPfPKfS1_fmm.numbered_sgpr, 12
	.set _Z15iso_2dfd_kernelPfPKfS1_fmm.num_named_barrier, 0
	.set _Z15iso_2dfd_kernelPfPKfS1_fmm.private_seg_size, 0
	.set _Z15iso_2dfd_kernelPfPKfS1_fmm.uses_vcc, 1
	.set _Z15iso_2dfd_kernelPfPKfS1_fmm.uses_flat_scratch, 0
	.set _Z15iso_2dfd_kernelPfPKfS1_fmm.has_dyn_sized_stack, 0
	.set _Z15iso_2dfd_kernelPfPKfS1_fmm.has_recursion, 0
	.set _Z15iso_2dfd_kernelPfPKfS1_fmm.has_indirect_call, 0
	.section	.AMDGPU.csdata,"",@progbits
; Kernel info:
; codeLenInByte = 400
; TotalNumSgprs: 16
; NumVgprs: 14
; ScratchSize: 0
; MemoryBound: 0
; FloatMode: 240
; IeeeMode: 1
; LDSByteSize: 0 bytes/workgroup (compile time only)
; SGPRBlocks: 1
; VGPRBlocks: 3
; NumSGPRsForWavesPerEU: 16
; NumVGPRsForWavesPerEU: 14
; Occupancy: 10
; WaveLimiterHint : 0
; COMPUTE_PGM_RSRC2:SCRATCH_EN: 0
; COMPUTE_PGM_RSRC2:USER_SGPR: 6
; COMPUTE_PGM_RSRC2:TRAP_HANDLER: 0
; COMPUTE_PGM_RSRC2:TGID_X_EN: 1
; COMPUTE_PGM_RSRC2:TGID_Y_EN: 1
; COMPUTE_PGM_RSRC2:TGID_Z_EN: 0
; COMPUTE_PGM_RSRC2:TIDIG_COMP_CNT: 1
	.section	.AMDGPU.gpr_maximums,"",@progbits
	.set amdgpu.max_num_vgpr, 0
	.set amdgpu.max_num_agpr, 0
	.set amdgpu.max_num_sgpr, 0
	.section	.AMDGPU.csdata,"",@progbits
	.type	__hip_cuid_7eb4eb3e0980d62,@object ; @__hip_cuid_7eb4eb3e0980d62
	.section	.bss,"aw",@nobits
	.globl	__hip_cuid_7eb4eb3e0980d62
__hip_cuid_7eb4eb3e0980d62:
	.byte	0                               ; 0x0
	.size	__hip_cuid_7eb4eb3e0980d62, 1

	.ident	"AMD clang version 22.0.0git (https://github.com/RadeonOpenCompute/llvm-project roc-7.2.4 26084 f58b06dce1f9c15707c5f808fd002e18c2accf7e)"
	.section	".note.GNU-stack","",@progbits
	.addrsig
	.addrsig_sym __hip_cuid_7eb4eb3e0980d62
	.amdgpu_metadata
---
amdhsa.kernels:
  - .args:
      - .address_space:  global
        .offset:         0
        .size:           8
        .value_kind:     global_buffer
      - .actual_access:  read_only
        .address_space:  global
        .offset:         8
        .size:           8
        .value_kind:     global_buffer
      - .actual_access:  read_only
        .address_space:  global
        .offset:         16
        .size:           8
        .value_kind:     global_buffer
      - .offset:         24
        .size:           4
        .value_kind:     by_value
      - .offset:         32
        .size:           8
        .value_kind:     by_value
      - .offset:         40
        .size:           8
        .value_kind:     by_value
      - .offset:         48
        .size:           4
        .value_kind:     hidden_block_count_x
      - .offset:         52
        .size:           4
        .value_kind:     hidden_block_count_y
      - .offset:         56
        .size:           4
        .value_kind:     hidden_block_count_z
      - .offset:         60
        .size:           2
        .value_kind:     hidden_group_size_x
      - .offset:         62
        .size:           2
        .value_kind:     hidden_group_size_y
      - .offset:         64
        .size:           2
        .value_kind:     hidden_group_size_z
      - .offset:         66
        .size:           2
        .value_kind:     hidden_remainder_x
      - .offset:         68
        .size:           2
        .value_kind:     hidden_remainder_y
      - .offset:         70
        .size:           2
        .value_kind:     hidden_remainder_z
      - .offset:         88
        .size:           8
        .value_kind:     hidden_global_offset_x
      - .offset:         96
        .size:           8
        .value_kind:     hidden_global_offset_y
      - .offset:         104
        .size:           8
        .value_kind:     hidden_global_offset_z
      - .offset:         112
        .size:           2
        .value_kind:     hidden_grid_dims
    .group_segment_fixed_size: 0
    .kernarg_segment_align: 8
    .kernarg_segment_size: 304
    .language:       OpenCL C
    .language_version:
      - 2
      - 0
    .max_flat_workgroup_size: 1024
    .name:           _Z15iso_2dfd_kernelPfPKfS1_fmm
    .private_segment_fixed_size: 0
    .sgpr_count:     16
    .sgpr_spill_count: 0
    .symbol:         _Z15iso_2dfd_kernelPfPKfS1_fmm.kd
    .uniform_work_group_size: 1
    .uses_dynamic_stack: false
    .vgpr_count:     14
    .vgpr_spill_count: 0
    .wavefront_size: 64
amdhsa.target:   amdgcn-amd-amdhsa--gfx906
amdhsa.version:
  - 1
  - 2
...

	.end_amdgpu_metadata
